;; amdgpu-corpus repo=zjin-lcf/HeCBench kind=compiled arch=gfx1100 opt=O3
	.text
	.amdgcn_target "amdgcn-amd-amdhsa--gfx1100"
	.amdhsa_code_object_version 6
	.protected	_Z11rng_wallacejPfS_PKf ; -- Begin function _Z11rng_wallacejPfS_PKf
	.globl	_Z11rng_wallacejPfS_PKf
	.p2align	8
	.type	_Z11rng_wallacejPfS_PKf,@function
_Z11rng_wallacejPfS_PKf:                ; @_Z11rng_wallacejPfS_PKf
; %bb.0:
	s_load_b128 s[4:7], s[0:1], 0x8
	s_mov_b32 s2, s15
	s_mov_b32 s3, 0
	v_lshl_or_b32 v19, s2, 11, v0
	s_delay_alu instid0(VALU_DEP_1) | instskip(NEXT) | instid1(VALU_DEP_1)
	v_dual_mov_b32 v20, 0 :: v_dual_add_nc_u32 v3, 0x500, v19
	v_dual_mov_b32 v2, v20 :: v_dual_add_nc_u32 v5, 0x600, v19
	v_or_b32_e32 v1, 0x400, v19
	v_lshlrev_b64 v[21:22], 2, v[19:20]
	v_dual_mov_b32 v4, v20 :: v_dual_add_nc_u32 v19, 0x700, v19
	v_mov_b32_e32 v6, v20
	s_delay_alu instid0(VALU_DEP_4) | instskip(NEXT) | instid1(VALU_DEP_3)
	v_lshlrev_b64 v[17:18], 2, v[1:2]
	v_lshlrev_b64 v[15:16], 2, v[3:4]
	s_delay_alu instid0(VALU_DEP_4)
	v_lshlrev_b64 v[11:12], 2, v[19:20]
	v_lshlrev_b32_e32 v19, 2, v0
	s_waitcnt lgkmcnt(0)
	v_add_co_u32 v1, vcc_lo, s4, v21
	v_add_co_ci_u32_e32 v2, vcc_lo, s5, v22, vcc_lo
	v_add_co_u32 v3, vcc_lo, s4, v17
	v_lshlrev_b64 v[13:14], 2, v[5:6]
	v_add_co_ci_u32_e32 v4, vcc_lo, s5, v18, vcc_lo
	v_add_co_u32 v5, vcc_lo, s4, v15
	v_add_co_ci_u32_e32 v6, vcc_lo, s5, v16, vcc_lo
	s_delay_alu instid0(VALU_DEP_4)
	v_add_co_u32 v7, vcc_lo, s4, v13
	v_add_co_ci_u32_e32 v8, vcc_lo, s5, v14, vcc_lo
	v_add_co_u32 v9, vcc_lo, s4, v11
	v_add_co_ci_u32_e32 v10, vcc_lo, s5, v12, vcc_lo
	s_clause 0x7
	global_load_b32 v23, v[1:2], off
	global_load_b32 v24, v[1:2], off offset:1024
	global_load_b32 v25, v[1:2], off offset:2048
	;; [unrolled: 1-line block ×3, first 2 shown]
	global_load_b32 v27, v[3:4], off
	global_load_b32 v28, v[5:6], off
	;; [unrolled: 1-line block ×4, first 2 shown]
	s_mov_b32 s4, exec_lo
	s_waitcnt vmcnt(6)
	ds_store_2addr_stride64_b32 v19, v23, v24 offset1:4
	s_waitcnt vmcnt(4)
	ds_store_2addr_stride64_b32 v19, v25, v26 offset0:8 offset1:12
	s_waitcnt vmcnt(2)
	ds_store_2addr_stride64_b32 v19, v27, v28 offset0:16 offset1:20
	s_waitcnt vmcnt(0)
	ds_store_2addr_stride64_b32 v19, v29, v30 offset0:24 offset1:28
	s_waitcnt lgkmcnt(0)
	s_barrier
	buffer_gl0_inv
	v_cmpx_eq_u32_e32 0, v0
	s_cbranch_execz .LBB0_2
; %bb.1:
	s_load_b64 s[8:9], s[0:1], 0x18
	s_lshl_b64 s[2:3], s[2:3], 2
	s_waitcnt lgkmcnt(0)
	s_add_u32 s2, s8, s2
	s_addc_u32 s3, s9, s3
	s_load_b32 s2, s[2:3], 0x0
	s_waitcnt lgkmcnt(0)
	v_mov_b32_e32 v23, s2
	ds_store_b32 v20, v23 offset:8192
.LBB0_2:
	s_or_b32 exec_lo, exec_lo, s4
	s_load_b32 s0, s[0:1], 0x0
	s_waitcnt lgkmcnt(0)
	s_barrier
	buffer_gl0_inv
	ds_load_b32 v32, v20 offset:8192
	ds_load_2addr_stride64_b32 v[23:24], v19 offset1:4
	ds_load_2addr_stride64_b32 v[25:26], v19 offset0:8 offset1:12
	ds_load_2addr_stride64_b32 v[27:28], v19 offset0:16 offset1:20
	v_add_co_u32 v20, vcc_lo, s6, v21
	s_movk_i32 s1, 0x1e20
	s_mov_b32 s2, 0x1c5c20
	v_add_co_ci_u32_e32 v21, vcc_lo, s7, v22, vcc_lo
	s_mov_b32 s3, 0x1ab2ba20
	s_mov_b32 s4, 0x22413820
	v_add_co_u32 v17, vcc_lo, s6, v17
	v_add_co_ci_u32_e32 v18, vcc_lo, s7, v18, vcc_lo
	v_add_co_u32 v15, vcc_lo, s6, v15
	s_mul_i32 s0, s0, 0x19660d
	v_add_co_ci_u32_e32 v16, vcc_lo, s7, v16, vcc_lo
	v_add3_u32 v0, 0x3c6ef35f, s0, v0
	s_mov_b32 s0, 0x3f65d620
	v_add_co_u32 v13, vcc_lo, s6, v13
	v_add_co_ci_u32_e32 v14, vcc_lo, s7, v14, vcc_lo
	s_delay_alu instid0(VALU_DEP_3)
	v_mad_u64_u32 v[29:30], null, v0, s0, 0x12c908e0
	s_mov_b32 s0, 0xaede9420
	v_add_co_u32 v11, vcc_lo, s6, v11
	v_mad_u64_u32 v[30:31], null, v0, s0, 0xffffffffaf416240
	s_waitcnt lgkmcnt(2)
	v_mul_f32_e32 v33, v32, v23
	v_mad_u64_u32 v[22:23], null, v0, s1, 0x760
	v_mul_f32_e32 v34, v32, v24
	v_mad_u64_u32 v[23:24], null, v0, s2, 0x6f8c0
	s_waitcnt lgkmcnt(1)
	v_mul_f32_e32 v35, v32, v25
	v_mad_u64_u32 v[24:25], null, v0, s3, 0x6903420
	s_mov_b32 s0, 0x9f897220
	v_mul_f32_e32 v36, v32, v26
	v_mad_u64_u32 v[25:26], null, v0, s4, 0x2dc11980
	v_and_b32_e32 v37, 0x1fe0, v22
	v_and_b32_e32 v38, 0x1fe0, v23
	;; [unrolled: 1-line block ×3, first 2 shown]
	v_mad_u64_u32 v[22:23], null, v0, s0, 0xfffffffffc8d85a0
	s_waitcnt lgkmcnt(0)
	v_mul_f32_e32 v31, v32, v27
	ds_load_2addr_stride64_b32 v[26:27], v19 offset0:24 offset1:28
	s_mov_b32 s0, 0x8c191c08
	v_dual_mul_f32 v28, v32, v28 :: v_dual_and_b32 v25, 0x1fe0, v25
	v_and_b32_e32 v29, 0x1fe0, v29
	v_and_b32_e32 v30, 0x1fe0, v30
	v_mad_u64_u32 v[23:24], null, v0, s0, 0xfffffffff04eb4c0
	v_and_b32_e32 v22, 0x1fe0, v22
	v_add_co_ci_u32_e32 v12, vcc_lo, s7, v12, vcc_lo
	s_waitcnt lgkmcnt(0)
	v_mul_f32_e32 v26, v32, v26
	ds_load_b32 v0, v37
	ds_load_b32 v24, v38 offset:4
	ds_load_b32 v37, v39 offset:8
	;; [unrolled: 1-line block ×5, first 2 shown]
	v_and_b32_e32 v23, 0x7f8, v23
	ds_load_b32 v22, v22 offset:24
	v_mul_f32_e32 v27, v32, v27
	s_waitcnt lgkmcnt(5)
	v_dual_add_f32 v38, v0, v24 :: v_dual_lshlrev_b32 v23, 2, v23
	s_waitcnt lgkmcnt(4)
	s_delay_alu instid0(VALU_DEP_1)
	v_add_f32_e32 v32, v38, v37
	ds_load_b32 v23, v23 offset:28
	s_waitcnt lgkmcnt(2)
	v_add_f32_e32 v38, v29, v30
	s_clause 0x7
	global_store_b32 v[20:21], v33, off
	global_store_b32 v[20:21], v34, off offset:1024
	global_store_b32 v[20:21], v35, off offset:2048
	;; [unrolled: 1-line block ×3, first 2 shown]
	global_store_b32 v[17:18], v31, off
	global_store_b32 v[15:16], v28, off
	;; [unrolled: 1-line block ×4, first 2 shown]
	s_waitcnt lgkmcnt(0)
	s_waitcnt_vscnt null, 0x0
	s_barrier
	buffer_gl0_inv
	v_add_f32_e32 v38, v38, v22
	s_delay_alu instid0(VALU_DEP_1) | instskip(NEXT) | instid1(VALU_DEP_1)
	v_dual_add_f32 v32, v32, v25 :: v_dual_add_f32 v11, v38, v23
	v_fmac_f32_e32 v0, -0.5, v32
	v_fmac_f32_e32 v24, -0.5, v32
	v_fma_f32 v12, v32, 0.5, -v37
	v_fma_f32 v13, v32, 0.5, -v25
	;; [unrolled: 1-line block ×4, first 2 shown]
	v_fmac_f32_e32 v22, -0.5, v11
	v_fmac_f32_e32 v23, -0.5, v11
	ds_store_2addr_stride64_b32 v19, v0, v24 offset1:4
	ds_store_2addr_stride64_b32 v19, v12, v13 offset0:8 offset1:12
	ds_store_2addr_stride64_b32 v19, v14, v15 offset0:16 offset1:20
	;; [unrolled: 1-line block ×3, first 2 shown]
	s_waitcnt lgkmcnt(0)
	s_barrier
	buffer_gl0_inv
	ds_load_2addr_stride64_b32 v[11:12], v19 offset1:4
	ds_load_2addr_stride64_b32 v[13:14], v19 offset0:8 offset1:12
	ds_load_2addr_stride64_b32 v[15:16], v19 offset0:16 offset1:20
	;; [unrolled: 1-line block ×3, first 2 shown]
	s_waitcnt lgkmcnt(3)
	s_clause 0x1
	global_store_b32 v[1:2], v11, off
	global_store_b32 v[1:2], v12, off offset:1024
	s_waitcnt lgkmcnt(2)
	s_clause 0x1
	global_store_b32 v[1:2], v13, off offset:2048
	global_store_b32 v[1:2], v14, off offset:3072
	s_waitcnt lgkmcnt(1)
	s_clause 0x1
	global_store_b32 v[3:4], v15, off
	global_store_b32 v[5:6], v16, off
	s_waitcnt lgkmcnt(0)
	s_clause 0x1
	global_store_b32 v[7:8], v17, off
	global_store_b32 v[9:10], v18, off
	s_nop 0
	s_sendmsg sendmsg(MSG_DEALLOC_VGPRS)
	s_endpgm
	.section	.rodata,"a",@progbits
	.p2align	6, 0x0
	.amdhsa_kernel _Z11rng_wallacejPfS_PKf
		.amdhsa_group_segment_fixed_size 8196
		.amdhsa_private_segment_fixed_size 0
		.amdhsa_kernarg_size 32
		.amdhsa_user_sgpr_count 15
		.amdhsa_user_sgpr_dispatch_ptr 0
		.amdhsa_user_sgpr_queue_ptr 0
		.amdhsa_user_sgpr_kernarg_segment_ptr 1
		.amdhsa_user_sgpr_dispatch_id 0
		.amdhsa_user_sgpr_private_segment_size 0
		.amdhsa_wavefront_size32 1
		.amdhsa_uses_dynamic_stack 0
		.amdhsa_enable_private_segment 0
		.amdhsa_system_sgpr_workgroup_id_x 1
		.amdhsa_system_sgpr_workgroup_id_y 0
		.amdhsa_system_sgpr_workgroup_id_z 0
		.amdhsa_system_sgpr_workgroup_info 0
		.amdhsa_system_vgpr_workitem_id 0
		.amdhsa_next_free_vgpr 40
		.amdhsa_next_free_sgpr 16
		.amdhsa_reserve_vcc 1
		.amdhsa_float_round_mode_32 0
		.amdhsa_float_round_mode_16_64 0
		.amdhsa_float_denorm_mode_32 3
		.amdhsa_float_denorm_mode_16_64 3
		.amdhsa_dx10_clamp 1
		.amdhsa_ieee_mode 1
		.amdhsa_fp16_overflow 0
		.amdhsa_workgroup_processor_mode 1
		.amdhsa_memory_ordered 1
		.amdhsa_forward_progress 0
		.amdhsa_shared_vgpr_count 0
		.amdhsa_exception_fp_ieee_invalid_op 0
		.amdhsa_exception_fp_denorm_src 0
		.amdhsa_exception_fp_ieee_div_zero 0
		.amdhsa_exception_fp_ieee_overflow 0
		.amdhsa_exception_fp_ieee_underflow 0
		.amdhsa_exception_fp_ieee_inexact 0
		.amdhsa_exception_int_div_zero 0
	.end_amdhsa_kernel
	.text
.Lfunc_end0:
	.size	_Z11rng_wallacejPfS_PKf, .Lfunc_end0-_Z11rng_wallacejPfS_PKf
                                        ; -- End function
	.section	.AMDGPU.csdata,"",@progbits
; Kernel info:
; codeLenInByte = 1244
; NumSgprs: 18
; NumVgprs: 40
; ScratchSize: 0
; MemoryBound: 0
; FloatMode: 240
; IeeeMode: 1
; LDSByteSize: 8196 bytes/workgroup (compile time only)
; SGPRBlocks: 2
; VGPRBlocks: 4
; NumSGPRsForWavesPerEU: 18
; NumVGPRsForWavesPerEU: 40
; Occupancy: 16
; WaveLimiterHint : 1
; COMPUTE_PGM_RSRC2:SCRATCH_EN: 0
; COMPUTE_PGM_RSRC2:USER_SGPR: 15
; COMPUTE_PGM_RSRC2:TRAP_HANDLER: 0
; COMPUTE_PGM_RSRC2:TGID_X_EN: 1
; COMPUTE_PGM_RSRC2:TGID_Y_EN: 0
; COMPUTE_PGM_RSRC2:TGID_Z_EN: 0
; COMPUTE_PGM_RSRC2:TIDIG_COMP_CNT: 0
	.text
	.p2alignl 7, 3214868480
	.fill 96, 4, 3214868480
	.type	__hip_cuid_fddbfad734befa3,@object ; @__hip_cuid_fddbfad734befa3
	.section	.bss,"aw",@nobits
	.globl	__hip_cuid_fddbfad734befa3
__hip_cuid_fddbfad734befa3:
	.byte	0                               ; 0x0
	.size	__hip_cuid_fddbfad734befa3, 1

	.ident	"AMD clang version 19.0.0git (https://github.com/RadeonOpenCompute/llvm-project roc-6.4.0 25133 c7fe45cf4b819c5991fe208aaa96edf142730f1d)"
	.section	".note.GNU-stack","",@progbits
	.addrsig
	.addrsig_sym __hip_cuid_fddbfad734befa3
	.amdgpu_metadata
---
amdhsa.kernels:
  - .args:
      - .offset:         0
        .size:           4
        .value_kind:     by_value
      - .address_space:  global
        .offset:         8
        .size:           8
        .value_kind:     global_buffer
      - .actual_access:  write_only
        .address_space:  global
        .offset:         16
        .size:           8
        .value_kind:     global_buffer
      - .address_space:  global
        .offset:         24
        .size:           8
        .value_kind:     global_buffer
    .group_segment_fixed_size: 8196
    .kernarg_segment_align: 8
    .kernarg_segment_size: 32
    .language:       OpenCL C
    .language_version:
      - 2
      - 0
    .max_flat_workgroup_size: 1024
    .name:           _Z11rng_wallacejPfS_PKf
    .private_segment_fixed_size: 0
    .sgpr_count:     18
    .sgpr_spill_count: 0
    .symbol:         _Z11rng_wallacejPfS_PKf.kd
    .uniform_work_group_size: 1
    .uses_dynamic_stack: false
    .vgpr_count:     40
    .vgpr_spill_count: 0
    .wavefront_size: 32
    .workgroup_processor_mode: 1
amdhsa.target:   amdgcn-amd-amdhsa--gfx1100
amdhsa.version:
  - 1
  - 2
...

	.end_amdgpu_metadata
